;; amdgpu-corpus repo=ROCm/rocFFT kind=compiled arch=gfx906 opt=O3
	.text
	.amdgcn_target "amdgcn-amd-amdhsa--gfx906"
	.amdhsa_code_object_version 6
	.protected	fft_rtc_fwd_len272_factors_16_17_wgs_119_tpt_17_halfLds_half_ip_CI_unitstride_sbrr_dirReg ; -- Begin function fft_rtc_fwd_len272_factors_16_17_wgs_119_tpt_17_halfLds_half_ip_CI_unitstride_sbrr_dirReg
	.globl	fft_rtc_fwd_len272_factors_16_17_wgs_119_tpt_17_halfLds_half_ip_CI_unitstride_sbrr_dirReg
	.p2align	8
	.type	fft_rtc_fwd_len272_factors_16_17_wgs_119_tpt_17_halfLds_half_ip_CI_unitstride_sbrr_dirReg,@function
fft_rtc_fwd_len272_factors_16_17_wgs_119_tpt_17_halfLds_half_ip_CI_unitstride_sbrr_dirReg: ; @fft_rtc_fwd_len272_factors_16_17_wgs_119_tpt_17_halfLds_half_ip_CI_unitstride_sbrr_dirReg
; %bb.0:
	s_load_dwordx2 s[2:3], s[4:5], 0x50
	s_load_dwordx4 s[8:11], s[4:5], 0x0
	s_load_dwordx2 s[12:13], s[4:5], 0x18
	v_mul_u32_u24_e32 v1, 0xf10, v0
	v_lshrrev_b32_e32 v1, 16, v1
	v_mad_u64_u32 v[4:5], s[0:1], s6, 7, v[1:2]
	v_mov_b32_e32 v6, 0
	s_waitcnt lgkmcnt(0)
	v_cmp_lt_u64_e64 s[0:1], s[10:11], 2
	v_mov_b32_e32 v5, v6
	v_mov_b32_e32 v1, 0
	;; [unrolled: 1-line block ×3, first 2 shown]
	s_and_b64 vcc, exec, s[0:1]
	v_mov_b32_e32 v2, 0
	v_mov_b32_e32 v10, v4
	s_cbranch_vccnz .LBB0_8
; %bb.1:
	s_load_dwordx2 s[0:1], s[4:5], 0x10
	s_add_u32 s6, s12, 8
	s_addc_u32 s7, s13, 0
	v_mov_b32_e32 v1, 0
	v_mov_b32_e32 v9, v5
	s_waitcnt lgkmcnt(0)
	s_add_u32 s16, s0, 8
	s_mov_b64 s[14:15], 1
	v_mov_b32_e32 v2, 0
	s_addc_u32 s17, s1, 0
	v_mov_b32_e32 v8, v4
.LBB0_2:                                ; =>This Inner Loop Header: Depth=1
	s_load_dwordx2 s[18:19], s[16:17], 0x0
                                        ; implicit-def: $vgpr10_vgpr11
	s_waitcnt lgkmcnt(0)
	v_or_b32_e32 v7, s19, v9
	v_cmp_ne_u64_e32 vcc, 0, v[6:7]
	s_and_saveexec_b64 s[0:1], vcc
	s_xor_b64 s[20:21], exec, s[0:1]
	s_cbranch_execz .LBB0_4
; %bb.3:                                ;   in Loop: Header=BB0_2 Depth=1
	v_cvt_f32_u32_e32 v3, s18
	v_cvt_f32_u32_e32 v5, s19
	s_sub_u32 s0, 0, s18
	s_subb_u32 s1, 0, s19
	v_mac_f32_e32 v3, 0x4f800000, v5
	v_rcp_f32_e32 v3, v3
	v_mul_f32_e32 v3, 0x5f7ffffc, v3
	v_mul_f32_e32 v5, 0x2f800000, v3
	v_trunc_f32_e32 v5, v5
	v_mac_f32_e32 v3, 0xcf800000, v5
	v_cvt_u32_f32_e32 v5, v5
	v_cvt_u32_f32_e32 v3, v3
	v_mul_lo_u32 v7, s0, v5
	v_mul_hi_u32 v10, s0, v3
	v_mul_lo_u32 v12, s1, v3
	v_mul_lo_u32 v11, s0, v3
	v_add_u32_e32 v7, v10, v7
	v_add_u32_e32 v7, v7, v12
	v_mul_hi_u32 v10, v3, v11
	v_mul_lo_u32 v12, v3, v7
	v_mul_hi_u32 v14, v3, v7
	v_mul_hi_u32 v13, v5, v11
	v_mul_lo_u32 v11, v5, v11
	v_mul_hi_u32 v15, v5, v7
	v_add_co_u32_e32 v10, vcc, v10, v12
	v_addc_co_u32_e32 v12, vcc, 0, v14, vcc
	v_mul_lo_u32 v7, v5, v7
	v_add_co_u32_e32 v10, vcc, v10, v11
	v_addc_co_u32_e32 v10, vcc, v12, v13, vcc
	v_addc_co_u32_e32 v11, vcc, 0, v15, vcc
	v_add_co_u32_e32 v7, vcc, v10, v7
	v_addc_co_u32_e32 v10, vcc, 0, v11, vcc
	v_add_co_u32_e32 v3, vcc, v3, v7
	v_addc_co_u32_e32 v5, vcc, v5, v10, vcc
	v_mul_lo_u32 v7, s0, v5
	v_mul_hi_u32 v10, s0, v3
	v_mul_lo_u32 v11, s1, v3
	v_mul_lo_u32 v12, s0, v3
	v_add_u32_e32 v7, v10, v7
	v_add_u32_e32 v7, v7, v11
	v_mul_lo_u32 v13, v3, v7
	v_mul_hi_u32 v14, v3, v12
	v_mul_hi_u32 v15, v3, v7
	;; [unrolled: 1-line block ×3, first 2 shown]
	v_mul_lo_u32 v12, v5, v12
	v_mul_hi_u32 v10, v5, v7
	v_add_co_u32_e32 v13, vcc, v14, v13
	v_addc_co_u32_e32 v14, vcc, 0, v15, vcc
	v_mul_lo_u32 v7, v5, v7
	v_add_co_u32_e32 v12, vcc, v13, v12
	v_addc_co_u32_e32 v11, vcc, v14, v11, vcc
	v_addc_co_u32_e32 v10, vcc, 0, v10, vcc
	v_add_co_u32_e32 v7, vcc, v11, v7
	v_addc_co_u32_e32 v10, vcc, 0, v10, vcc
	v_add_co_u32_e32 v3, vcc, v3, v7
	v_addc_co_u32_e32 v5, vcc, v5, v10, vcc
	v_mad_u64_u32 v[10:11], s[0:1], v8, v5, 0
	v_mul_hi_u32 v7, v8, v3
	v_mad_u64_u32 v[12:13], s[0:1], v9, v5, 0
	v_add_co_u32_e32 v7, vcc, v7, v10
	v_addc_co_u32_e32 v14, vcc, 0, v11, vcc
	v_mad_u64_u32 v[10:11], s[0:1], v9, v3, 0
	v_add_co_u32_e32 v3, vcc, v7, v10
	v_addc_co_u32_e32 v3, vcc, v14, v11, vcc
	v_addc_co_u32_e32 v5, vcc, 0, v13, vcc
	v_add_co_u32_e32 v3, vcc, v3, v12
	v_addc_co_u32_e32 v5, vcc, 0, v5, vcc
	v_mul_lo_u32 v7, s19, v3
	v_mul_lo_u32 v12, s18, v5
	v_mad_u64_u32 v[10:11], s[0:1], s18, v3, 0
	v_add3_u32 v7, v11, v12, v7
	v_sub_u32_e32 v11, v9, v7
	v_mov_b32_e32 v12, s19
	v_sub_co_u32_e32 v10, vcc, v8, v10
	v_subb_co_u32_e64 v11, s[0:1], v11, v12, vcc
	v_subrev_co_u32_e64 v12, s[0:1], s18, v10
	v_subbrev_co_u32_e64 v11, s[0:1], 0, v11, s[0:1]
	v_cmp_le_u32_e64 s[0:1], s19, v11
	v_cndmask_b32_e64 v13, 0, -1, s[0:1]
	v_cmp_le_u32_e64 s[0:1], s18, v12
	v_cndmask_b32_e64 v12, 0, -1, s[0:1]
	v_cmp_eq_u32_e64 s[0:1], s19, v11
	v_cndmask_b32_e64 v11, v13, v12, s[0:1]
	v_add_co_u32_e64 v12, s[0:1], 2, v3
	v_addc_co_u32_e64 v13, s[0:1], 0, v5, s[0:1]
	v_add_co_u32_e64 v14, s[0:1], 1, v3
	v_addc_co_u32_e64 v15, s[0:1], 0, v5, s[0:1]
	v_subb_co_u32_e32 v7, vcc, v9, v7, vcc
	v_cmp_ne_u32_e64 s[0:1], 0, v11
	v_cmp_le_u32_e32 vcc, s19, v7
	v_cndmask_b32_e64 v11, v15, v13, s[0:1]
	v_cndmask_b32_e64 v13, 0, -1, vcc
	v_cmp_le_u32_e32 vcc, s18, v10
	v_cndmask_b32_e64 v10, 0, -1, vcc
	v_cmp_eq_u32_e32 vcc, s19, v7
	v_cndmask_b32_e32 v7, v13, v10, vcc
	v_cmp_ne_u32_e32 vcc, 0, v7
	v_cndmask_b32_e32 v11, v5, v11, vcc
	v_cndmask_b32_e64 v5, v14, v12, s[0:1]
	v_cndmask_b32_e32 v10, v3, v5, vcc
.LBB0_4:                                ;   in Loop: Header=BB0_2 Depth=1
	s_andn2_saveexec_b64 s[0:1], s[20:21]
	s_cbranch_execz .LBB0_6
; %bb.5:                                ;   in Loop: Header=BB0_2 Depth=1
	v_cvt_f32_u32_e32 v3, s18
	s_sub_i32 s20, 0, s18
	v_mov_b32_e32 v11, v6
	v_rcp_iflag_f32_e32 v3, v3
	v_mul_f32_e32 v3, 0x4f7ffffe, v3
	v_cvt_u32_f32_e32 v3, v3
	v_mul_lo_u32 v5, s20, v3
	v_mul_hi_u32 v5, v3, v5
	v_add_u32_e32 v3, v3, v5
	v_mul_hi_u32 v3, v8, v3
	v_mul_lo_u32 v5, v3, s18
	v_add_u32_e32 v7, 1, v3
	v_sub_u32_e32 v5, v8, v5
	v_subrev_u32_e32 v10, s18, v5
	v_cmp_le_u32_e32 vcc, s18, v5
	v_cndmask_b32_e32 v5, v5, v10, vcc
	v_cndmask_b32_e32 v3, v3, v7, vcc
	v_add_u32_e32 v7, 1, v3
	v_cmp_le_u32_e32 vcc, s18, v5
	v_cndmask_b32_e32 v10, v3, v7, vcc
.LBB0_6:                                ;   in Loop: Header=BB0_2 Depth=1
	s_or_b64 exec, exec, s[0:1]
	v_mul_lo_u32 v3, v11, s18
	v_mul_lo_u32 v5, v10, s19
	v_mad_u64_u32 v[12:13], s[0:1], v10, s18, 0
	s_load_dwordx2 s[0:1], s[6:7], 0x0
	s_add_u32 s14, s14, 1
	v_add3_u32 v3, v13, v5, v3
	v_sub_co_u32_e32 v5, vcc, v8, v12
	v_subb_co_u32_e32 v3, vcc, v9, v3, vcc
	s_waitcnt lgkmcnt(0)
	v_mul_lo_u32 v3, s0, v3
	v_mul_lo_u32 v7, s1, v5
	v_mad_u64_u32 v[1:2], s[0:1], s0, v5, v[1:2]
	s_addc_u32 s15, s15, 0
	s_add_u32 s6, s6, 8
	v_add3_u32 v2, v7, v2, v3
	v_mov_b32_e32 v7, s10
	v_mov_b32_e32 v8, s11
	s_addc_u32 s7, s7, 0
	v_cmp_ge_u64_e32 vcc, s[14:15], v[7:8]
	s_add_u32 s16, s16, 8
	s_addc_u32 s17, s17, 0
	s_cbranch_vccnz .LBB0_8
; %bb.7:                                ;   in Loop: Header=BB0_2 Depth=1
	v_mov_b32_e32 v8, v10
	v_mov_b32_e32 v9, v11
	s_branch .LBB0_2
.LBB0_8:
	s_lshl_b64 s[0:1], s[10:11], 3
	s_add_u32 s0, s12, s0
	s_addc_u32 s1, s13, s1
	s_load_dwordx2 s[6:7], s[0:1], 0x0
	s_load_dwordx2 s[10:11], s[4:5], 0x20
	v_mov_b32_e32 v17, 0
	v_mov_b32_e32 v13, 0
	;; [unrolled: 1-line block ×3, first 2 shown]
	s_waitcnt lgkmcnt(0)
	v_mad_u64_u32 v[1:2], s[0:1], s6, v10, v[1:2]
	s_mov_b32 s0, 0xf0f0f10
	v_mul_lo_u32 v3, s6, v11
	v_mul_lo_u32 v5, s7, v10
	v_mul_hi_u32 v6, v0, s0
	v_cmp_gt_u64_e32 vcc, s[10:11], v[10:11]
	v_mov_b32_e32 v26, 0
	v_add3_u32 v2, v5, v2, v3
	v_mul_u32_u24_e32 v3, 17, v6
	v_sub_u32_e32 v0, v0, v3
	v_lshlrev_b64 v[2:3], 2, v[1:2]
	v_mov_b32_e32 v5, 0
	v_mov_b32_e32 v27, 0
	;; [unrolled: 1-line block ×4, first 2 shown]
                                        ; implicit-def: $vgpr6
                                        ; implicit-def: $vgpr1
                                        ; implicit-def: $vgpr21
                                        ; implicit-def: $vgpr11
                                        ; implicit-def: $vgpr12
                                        ; implicit-def: $vgpr7
                                        ; implicit-def: $vgpr20
                                        ; implicit-def: $vgpr10
                                        ; implicit-def: $vgpr14
                                        ; implicit-def: $vgpr8
                                        ; implicit-def: $vgpr25
                                        ; implicit-def: $vgpr18
                                        ; implicit-def: $vgpr16
                                        ; implicit-def: $vgpr9
                                        ; implicit-def: $vgpr23
                                        ; implicit-def: $vgpr19
	s_and_saveexec_b64 s[4:5], vcc
	s_cbranch_execz .LBB0_10
; %bb.9:
	v_mov_b32_e32 v1, 0
	v_mov_b32_e32 v5, s3
	v_add_co_u32_e64 v7, s[0:1], s2, v2
	v_addc_co_u32_e64 v8, s[0:1], v5, v3, s[0:1]
	v_lshlrev_b64 v[5:6], 2, v[0:1]
	v_add_co_u32_e64 v20, s[0:1], v7, v5
	v_addc_co_u32_e64 v21, s[0:1], v8, v6, s[0:1]
	global_load_dword v1, v[20:21], off offset:544
	global_load_dword v11, v[20:21], off offset:612
	;; [unrolled: 1-line block ×8, first 2 shown]
	global_load_dword v5, v[20:21], off
	global_load_dword v26, v[20:21], off offset:68
	global_load_dword v13, v[20:21], off offset:136
	;; [unrolled: 1-line block ×7, first 2 shown]
	s_waitcnt vmcnt(15)
	v_lshrrev_b32_e32 v6, 16, v1
	s_waitcnt vmcnt(14)
	v_lshrrev_b32_e32 v21, 16, v11
	;; [unrolled: 2-line block ×8, first 2 shown]
.LBB0_10:
	s_or_b64 exec, exec, s[4:5]
	s_mov_b32 s0, 0x24924925
	v_mul_hi_u32 v28, v4, s0
	s_waitcnt vmcnt(2)
	v_lshrrev_b32_e32 v30, 16, v27
	v_lshrrev_b32_e32 v29, 16, v26
	v_sub_f16_e32 v11, v26, v11
	v_sub_u32_e32 v31, v4, v28
	v_lshrrev_b32_e32 v31, 1, v31
	v_add_u32_e32 v28, v31, v28
	v_lshrrev_b32_e32 v28, 2, v28
	v_mul_lo_u32 v28, v28, 7
	v_sub_f16_e32 v10, v24, v10
	v_sub_f16_e32 v21, v29, v21
	s_waitcnt vmcnt(0)
	v_sub_f16_e32 v19, v22, v19
	v_sub_u32_e32 v28, v4, v28
	v_sub_f16_e32 v4, v27, v18
	v_sub_f16_e32 v18, v30, v25
	v_fma_f16 v25, v27, 2.0, -v4
	v_lshrrev_b32_e32 v27, 16, v24
	v_sub_f16_e32 v20, v27, v20
	v_fma_f16 v31, v27, 2.0, -v20
	v_lshrrev_b32_e32 v27, 16, v22
	v_sub_f16_e32 v23, v27, v23
	v_fma_f16 v30, v30, 2.0, -v18
	v_fma_f16 v32, v27, 2.0, -v23
	v_sub_f16_e32 v18, v11, v18
	v_sub_f16_e32 v23, v10, v23
	v_fma_f16 v24, v24, 2.0, -v10
	v_fma_f16 v22, v22, 2.0, -v19
	v_add_f16_e32 v33, v21, v4
	v_fma_f16 v35, v11, 2.0, -v18
	v_add_f16_e32 v19, v20, v19
	v_fma_f16 v10, v10, 2.0, -v23
	s_mov_b32 s1, 0xb9a8
	v_fma_f16 v26, v26, 2.0, -v11
	v_fma_f16 v29, v29, 2.0, -v21
	;; [unrolled: 1-line block ×4, first 2 shown]
	v_fma_f16 v4, v10, s1, v35
	s_movk_i32 s0, 0x39a8
	v_fma_f16 v4, v11, s1, v4
	v_fma_f16 v11, v11, s1, v21
	;; [unrolled: 1-line block ×4, first 2 shown]
	v_sub_f16_e32 v20, v15, v9
	v_lshrrev_b32_e32 v9, 16, v15
	v_fma_f16 v27, v19, s1, v10
	v_fma_f16 v10, v19, s0, v33
	v_sub_f16_e32 v1, v5, v1
	v_sub_f16_e32 v8, v17, v8
	;; [unrolled: 1-line block ×3, first 2 shown]
	v_fma_f16 v34, v23, s0, v10
	v_lshrrev_b32_e32 v10, 16, v17
	v_fma_f16 v17, v17, 2.0, -v8
	v_sub_f16_e32 v19, v13, v7
	v_fma_f16 v23, v9, 2.0, -v16
	v_fma_f16 v9, v5, 2.0, -v1
	v_sub_f16_e32 v14, v10, v14
	v_lshrrev_b32_e32 v7, 16, v13
	v_fma_f16 v13, v13, 2.0, -v19
	v_fma_f16 v15, v15, 2.0, -v20
	v_sub_f16_e32 v17, v9, v17
	v_mul_u32_u24_e32 v36, 0x110, v28
	v_sub_f16_e32 v12, v7, v12
	v_fma_f16 v28, v9, 2.0, -v17
	v_sub_f16_e32 v37, v1, v14
	v_sub_f16_e32 v9, v13, v15
	v_sub_f16_e32 v41, v19, v16
	v_fma_f16 v1, v1, 2.0, -v37
	v_fma_f16 v13, v13, 2.0, -v9
	v_add_f16_e32 v43, v12, v20
	v_fma_f16 v44, v19, 2.0, -v41
	v_fma_f16 v7, v7, 2.0, -v12
	;; [unrolled: 1-line block ×3, first 2 shown]
	v_sub_f16_e32 v40, v28, v13
	v_fma_f16 v13, v44, s1, v1
	v_sub_f16_e32 v15, v7, v23
	v_sub_f16_e32 v16, v26, v25
	;; [unrolled: 1-line block ×4, first 2 shown]
	v_fma_f16 v42, v45, s1, v13
	v_sub_f16_e32 v19, v29, v30
	v_fma_f16 v20, v26, 2.0, -v16
	v_fma_f16 v12, v24, 2.0, -v22
	;; [unrolled: 1-line block ×4, first 2 shown]
	v_sub_f16_e32 v46, v17, v15
	v_fma_f16 v1, v41, s0, v37
	v_sub_f16_e32 v52, v16, v38
	v_fma_f16 v17, v17, 2.0, -v46
	v_fma_f16 v47, v43, s1, v1
	v_sub_f16_e32 v12, v20, v12
	v_add_f16_e32 v51, v19, v22
	v_fma_f16 v53, v16, 2.0, -v52
	v_fma_f16 v37, v37, 2.0, -v47
	;; [unrolled: 1-line block ×5, first 2 shown]
	s_mov_b32 s7, 0xbb64
	s_mov_b32 s6, 0xb61f
	v_fma_f16 v54, v19, 2.0, -v51
	v_fma_f16 v18, v53, s1, v17
	v_fma_f16 v32, v21, 2.0, -v11
	v_fma_f16 v26, v33, 2.0, -v34
	v_sub_f16_e32 v13, v23, v1
	v_fma_f16 v16, v24, s7, v28
	v_fma_f16 v30, v54, s1, v18
	v_fma_f16 v18, v25, s6, v37
	v_fma_f16 v1, v23, 2.0, -v13
	v_fma_f16 v39, v32, s6, v16
	v_fma_f16 v23, v26, s7, v18
	v_fma_f16 v16, v28, 2.0, -v39
	v_fma_f16 v17, v17, 2.0, -v30
	;; [unrolled: 1-line block ×3, first 2 shown]
	v_lshl_add_u32 v50, v0, 5, 0
	v_lshl_add_u32 v35, v36, 1, v50
	v_pack_b32_f16 v20, v17, v18
	v_pack_b32_f16 v21, v1, v16
	v_fma_f16 v33, v29, 2.0, -v19
	v_fma_f16 v19, v31, 2.0, -v38
	s_movk_i32 s10, 0x361f
	s_movk_i32 s11, 0x3b64
	ds_write2_b32 v35, v21, v20 offset1:1
	v_sub_f16_e32 v38, v33, v19
	v_fma_f16 v20, v4, s10, v42
	v_fma_f16 v21, v52, s0, v46
	;; [unrolled: 1-line block ×3, first 2 shown]
	v_sub_f16_e32 v28, v40, v38
	v_fma_f16 v22, v11, s7, v20
	v_fma_f16 v21, v51, s1, v21
	;; [unrolled: 1-line block ×3, first 2 shown]
	v_fma_f16 v19, v40, 2.0, -v28
	v_fma_f16 v20, v42, 2.0, -v22
	;; [unrolled: 1-line block ×4, first 2 shown]
	v_pack_b32_f16 v31, v40, v42
	v_pack_b32_f16 v37, v19, v20
	ds_write2_b32 v35, v37, v31 offset0:2 offset1:3
	v_pack_b32_f16 v31, v30, v23
	v_pack_b32_f16 v37, v13, v39
	ds_write2_b32 v35, v37, v31 offset0:4 offset1:5
	;; [unrolled: 3-line block ×3, first 2 shown]
	v_mul_f16_e32 v48, 0x39a8, v44
	v_mul_f16_e32 v49, 0x39a8, v45
	;; [unrolled: 1-line block ×8, first 2 shown]
	v_cmp_gt_u32_e64 s[0:1], 16, v0
	v_lshlrev_b32_e32 v36, 1, v36
	v_lshlrev_b32_e32 v37, 1, v0
	s_waitcnt lgkmcnt(0)
	s_barrier
	s_waitcnt lgkmcnt(0)
                                        ; implicit-def: $vgpr31
	s_and_saveexec_b64 s[4:5], s[0:1]
	s_cbranch_execz .LBB0_12
; %bb.11:
	v_mul_i32_i24_e32 v13, 0xffffffe2, v0
	v_add3_u32 v1, 0, v36, v37
	v_add3_u32 v31, v50, v13, v36
	ds_read_u16 v1, v1
	ds_read_u16 v16, v31 offset:32
	ds_read_u16 v17, v31 offset:64
	;; [unrolled: 1-line block ×16, first 2 shown]
.LBB0_12:
	s_or_b64 exec, exec, s[4:5]
	v_lshrrev_b32_e32 v5, 16, v5
	v_sub_f16_e32 v6, v5, v6
	v_fma_f16 v5, v5, 2.0, -v6
	v_fma_f16 v10, v10, 2.0, -v14
	v_sub_f16_e32 v10, v5, v10
	v_add_f16_e32 v8, v6, v8
	v_fma_f16 v5, v5, 2.0, -v10
	v_fma_f16 v6, v6, 2.0, -v8
	;; [unrolled: 1-line block ×3, first 2 shown]
	v_sub_f16_e32 v14, v5, v7
	v_sub_f16_e32 v7, v6, v49
	v_add_f16_e32 v48, v48, v7
	v_fma_f16 v49, v6, 2.0, -v48
	v_add_f16_e32 v6, v8, v47
	v_fma_f16 v5, v5, 2.0, -v14
	;; [unrolled: 2-line block ×3, first 2 shown]
	v_add_f16_e32 v50, v10, v9
	v_sub_f16_e32 v7, v5, v6
	v_fma_f16 v9, v10, 2.0, -v50
	v_fma_f16 v6, v5, 2.0, -v7
	v_fma_f16 v5, v32, s7, v49
	v_fma_f16 v10, v8, 2.0, -v46
	v_fma_f16 v15, v24, s10, v5
	v_sub_f16_e32 v5, v9, v45
	v_add_f16_e32 v24, v44, v5
	v_fma_f16 v5, v26, s6, v10
	v_fma_f16 v25, v25, s11, v5
	;; [unrolled: 1-line block ×4, first 2 shown]
	v_add_f16_e32 v4, v50, v43
	v_add_f16_e32 v33, v41, v4
	v_fma_f16 v4, v34, s11, v46
	v_fma_f16 v8, v49, 2.0, -v15
	v_fma_f16 v9, v9, 2.0, -v24
	;; [unrolled: 1-line block ×3, first 2 shown]
	v_add_f16_e32 v26, v14, v12
	v_fma_f16 v34, v27, s10, v4
	v_fma_f16 v12, v14, 2.0, -v26
	v_fma_f16 v11, v48, 2.0, -v32
	;; [unrolled: 1-line block ×4, first 2 shown]
	v_pack_b32_f16 v4, v9, v10
	v_pack_b32_f16 v5, v6, v8
	s_waitcnt lgkmcnt(0)
	s_barrier
	ds_write2_b32 v35, v5, v4 offset1:1
	v_pack_b32_f16 v4, v14, v27
	v_pack_b32_f16 v5, v12, v11
	ds_write2_b32 v35, v5, v4 offset0:2 offset1:3
	v_pack_b32_f16 v4, v24, v25
	v_pack_b32_f16 v5, v7, v15
	ds_write2_b32 v35, v5, v4 offset0:4 offset1:5
	v_pack_b32_f16 v4, v33, v34
	v_pack_b32_f16 v5, v26, v32
	ds_write2_b32 v35, v5, v4 offset0:6 offset1:7
	s_waitcnt lgkmcnt(0)
	s_barrier
	s_waitcnt lgkmcnt(0)
                                        ; implicit-def: $vgpr35
	s_and_saveexec_b64 s[4:5], s[0:1]
	s_cbranch_execnz .LBB0_15
; %bb.13:
	s_or_b64 exec, exec, s[4:5]
	s_and_b64 s[0:1], vcc, s[0:1]
	s_and_saveexec_b64 s[4:5], s[0:1]
	s_cbranch_execnz .LBB0_16
.LBB0_14:
	s_endpgm
.LBB0_15:
	v_add3_u32 v4, 0, v36, v37
	v_add3_u32 v5, 0, v37, v36
	ds_read_u16 v6, v4
	ds_read_u16 v8, v5 offset:32
	ds_read_u16 v9, v5 offset:64
	;; [unrolled: 1-line block ×16, first 2 shown]
	s_or_b64 exec, exec, s[4:5]
	s_and_b64 s[0:1], vcc, s[0:1]
	s_and_saveexec_b64 s[4:5], s[0:1]
	s_cbranch_execz .LBB0_14
.LBB0_16:
	v_lshlrev_b32_e32 v4, 4, v0
	v_mov_b32_e32 v5, 0
	v_lshlrev_b64 v[36:37], 2, v[4:5]
	v_mov_b32_e32 v4, s9
	v_add_co_u32_e32 v36, vcc, s8, v36
	v_addc_co_u32_e32 v37, vcc, v4, v37, vcc
	global_load_dwordx4 v[43:46], v[36:37], off
	global_load_dwordx4 v[47:50], v[36:37], off offset:48
	global_load_dwordx4 v[51:54], v[36:37], off offset:16
	;; [unrolled: 1-line block ×3, first 2 shown]
	s_movk_i32 s6, 0x3964
	s_movk_i32 s16, 0x3bf7
	;; [unrolled: 1-line block ×4, first 2 shown]
	s_mov_b32 s11, 0xb836
	s_mov_b32 s22, 0xbbb2
	;; [unrolled: 1-line block ×4, first 2 shown]
	s_movk_i32 s1, 0x39e9
	s_movk_i32 s0, 0x2de8
	s_mov_b32 s4, 0xb8d2
	s_mov_b32 s5, 0xbbdd
	;; [unrolled: 1-line block ×4, first 2 shown]
	s_movk_i32 s9, 0x3722
	s_movk_i32 s10, 0x3b76
	;; [unrolled: 1-line block ×3, first 2 shown]
	s_mov_b32 s18, 0xb1e1
	s_mov_b32 s20, 0xb964
	s_movk_i32 s19, 0x35c8
	s_movk_i32 s21, 0x3836
	s_mov_b32 s23, 0xba62
	s_movk_i32 s24, 0x3bb2
	s_mov_b32 s25, 0xbbf7
	v_add_co_u32_e32 v2, vcc, s2, v2
	s_waitcnt vmcnt(3)
	v_lshrrev_b32_e32 v36, 16, v43
	v_lshrrev_b32_e32 v38, 16, v45
	s_waitcnt lgkmcnt(14)
	v_mul_f16_e32 v59, v8, v43
	s_waitcnt vmcnt(2)
	v_lshrrev_b32_e32 v4, 16, v50
	s_waitcnt lgkmcnt(0)
	v_mul_f16_e32 v63, v35, v50
	v_lshrrev_b32_e32 v37, 16, v44
	v_lshrrev_b32_e32 v41, 16, v46
	v_mul_f16_e32 v60, v9, v44
	v_mul_f16_e32 v61, v10, v45
	;; [unrolled: 1-line block ×3, first 2 shown]
	v_lshrrev_b32_e32 v68, 16, v47
	s_waitcnt vmcnt(1)
	v_lshrrev_b32_e32 v70, 16, v51
	v_lshrrev_b32_e32 v73, 16, v52
	s_waitcnt vmcnt(0)
	v_lshrrev_b32_e32 v80, 16, v56
	v_lshrrev_b32_e32 v72, 16, v57
	;; [unrolled: 1-line block ×3, first 2 shown]
	v_mul_f16_e32 v86, v8, v36
	v_mul_f16_e32 v88, v10, v38
	;; [unrolled: 1-line block ×3, first 2 shown]
	v_fma_f16 v4, v31, v4, v63
	v_fma_f16 v10, v16, v36, v59
	v_lshrrev_b32_e32 v66, 16, v48
	v_mul_f16_e32 v67, v33, v48
	v_mul_f16_e32 v69, v32, v47
	;; [unrolled: 1-line block ×11, first 2 shown]
	v_fma_f16 v11, v17, v37, v60
	v_fma_f16 v12, v18, v38, v61
	;; [unrolled: 1-line block ×3, first 2 shown]
	v_mul_f16_e32 v37, v26, v81
	v_mul_f16_e32 v38, v25, v72
	v_mul_f16_e32 v41, v24, v80
	v_fma_f16 v24, v16, v43, -v86
	v_fma_f16 v26, v18, v45, -v88
	;; [unrolled: 1-line block ×3, first 2 shown]
	v_add_f16_e32 v16, v4, v10
	v_lshrrev_b32_e32 v64, 16, v49
	v_mul_f16_e32 v65, v34, v49
	v_lshrrev_b32_e32 v77, 16, v54
	v_mul_f16_e32 v83, v25, v57
	v_mul_f16_e32 v33, v33, v66
	v_fma_f16 v8, v21, v66, v67
	v_fma_f16 v9, v22, v68, v69
	v_fma_f16 v22, v22, v47, -v32
	v_fma_f16 v32, v23, v57, -v38
	v_mul_f16_e32 v66, 0x39e9, v16
	v_sub_f16_e32 v57, v24, v18
	v_lshrrev_b32_e32 v75, 16, v53
	v_mul_f16_e32 v78, v7, v54
	v_mul_f16_e32 v34, v34, v64
	;; [unrolled: 1-line block ×3, first 2 shown]
	v_fma_f16 v7, v29, v64, v65
	v_fma_f16 v25, v17, v44, -v87
	v_fma_f16 v17, v57, s6, v66
	v_mul_f16_e32 v76, v27, v53
	v_lshrrev_b32_e32 v79, 16, v55
	v_mul_f16_e32 v92, v27, v75
	v_fma_f16 v27, v19, v46, -v89
	v_fma_f16 v19, v29, v49, -v34
	v_add_f16_e32 v31, v6, v17
	v_add_f16_e32 v17, v7, v11
	v_mul_f16_e32 v85, v15, v55
	v_mul_f16_e32 v59, v15, v79
	v_fma_f16 v15, v28, v81, v82
	v_fma_f16 v28, v28, v58, -v37
	v_mul_f16_e32 v68, 0x2de8, v17
	v_sub_f16_e32 v58, v25, v19
	v_fma_f16 v21, v21, v48, -v33
	v_fma_f16 v33, v20, v51, -v90
	v_fma_f16 v29, v20, v70, v71
	v_fma_f16 v20, v58, s16, v68
	v_fma_f16 v37, v30, v56, -v41
	v_add_f16_e32 v41, v31, v20
	v_add_f16_e32 v20, v8, v12
	v_fma_f16 v38, v39, v55, -v59
	v_fma_f16 v31, v23, v72, v83
	v_mul_f16_e32 v72, 0xb8d2, v20
	v_sub_f16_e32 v59, v26, v21
	v_fma_f16 v23, v59, s13, v72
	v_add_f16_e32 v43, v41, v23
	v_add_f16_e32 v23, v9, v14
	v_fma_f16 v41, v40, v73, v74
	v_mul_f16_e32 v74, 0xbbdd, v23
	v_sub_f16_e32 v61, v27, v22
	v_fma_f16 v34, v40, v52, -v91
	v_fma_f16 v40, v30, v80, v84
	v_fma_f16 v30, v61, s12, v74
	v_add_f16_e32 v43, v43, v30
	v_add_f16_e32 v30, v15, v29
	v_fma_f16 v45, v42, v75, v76
	v_mul_f16_e32 v76, 0xbacd, v30
	v_sub_f16_e32 v62, v33, v28
	v_fma_f16 v47, v39, v79, v85
	v_add_f16_e32 v39, v31, v41
	v_fma_f16 v35, v42, v53, -v92
	v_fma_f16 v42, v62, s11, v76
	v_mul_f16_e32 v79, 0xb461, v39
	v_sub_f16_e32 v63, v34, v32
	v_fma_f16 v36, v13, v54, -v93
	v_add_f16_e32 v42, v43, v42
	v_fma_f16 v49, v13, v77, v78
	v_fma_f16 v13, v63, s22, v79
	v_add_f16_e32 v13, v42, v13
	v_add_f16_e32 v42, v40, v45
	v_mul_f16_e32 v82, 0x3722, v42
	v_sub_f16_e32 v64, v35, v37
	v_fma_f16 v43, v64, s15, v82
	v_add_f16_e32 v13, v13, v43
	v_add_f16_e32 v43, v47, v49
	v_mul_f16_e32 v83, 0x3b76, v43
	v_sub_f16_e32 v65, v36, v38
	v_sub_f16_e32 v67, v10, v4
	v_fma_f16 v44, v65, s14, v83
	v_add_f16_e32 v46, v18, v24
	v_mul_f16_e32 v84, 0xb964, v67
	v_sub_f16_e32 v69, v11, v7
	v_add_f16_e32 v13, v13, v44
	v_fma_f16 v44, v46, s1, v84
	v_add_f16_e32 v48, v19, v25
	v_mul_f16_e32 v85, 0xbbf7, v69
	v_add_f16_e32 v44, v1, v44
	v_fma_f16 v50, v48, s0, v85
	v_sub_f16_e32 v71, v12, v8
	v_add_f16_e32 v44, v44, v50
	v_add_f16_e32 v50, v21, v26
	v_mul_f16_e32 v86, 0xba62, v71
	v_fma_f16 v51, v50, s4, v86
	v_sub_f16_e32 v73, v14, v9
	v_add_f16_e32 v44, v44, v51
	v_add_f16_e32 v51, v22, v27
	v_mul_f16_e32 v87, 0xb1e1, v73
	;; [unrolled: 5-line block ×4, first 2 shown]
	v_sub_f16_e32 v78, v45, v40
	v_fma_f16 v54, v53, s8, v90
	v_add_f16_e32 v55, v37, v35
	v_mul_f16_e32 v91, 0x3b29, v78
	v_sub_f16_e32 v80, v49, v47
	v_add_f16_e32 v44, v44, v54
	v_fma_f16 v54, v55, s9, v91
	v_add_f16_e32 v56, v38, v36
	v_mul_f16_e32 v92, 0x35c8, v80
	v_add_f16_e32 v44, v44, v54
	v_fma_f16 v54, v56, s10, v92
	v_mul_f16_e32 v94, 0x3722, v16
	v_add_f16_e32 v44, v44, v54
	v_fma_f16 v54, v57, s17, v94
	v_mul_f16_e32 v95, 0xb8d2, v17
	v_add_f16_e32 v54, v6, v54
	v_fma_f16 v60, v58, s13, v95
	v_mul_f16_e32 v96, 0xbbdd, v20
	v_add_f16_e32 v54, v54, v60
	v_fma_f16 v60, v59, s18, v96
	v_mul_f16_e32 v97, 0xb461, v23
	v_add_f16_e32 v54, v54, v60
	v_fma_f16 v60, v61, s22, v97
	v_mul_f16_e32 v98, 0x39e9, v30
	v_add_f16_e32 v54, v54, v60
	v_fma_f16 v60, v62, s20, v98
	v_mul_f16_e32 v99, 0x3b76, v39
	v_add_f16_e32 v54, v54, v60
	v_fma_f16 v60, v63, s19, v99
	v_mul_f16_e32 v100, 0x2de8, v42
	v_add_f16_e32 v54, v54, v60
	v_fma_f16 v60, v64, s16, v100
	v_mul_f16_e32 v101, 0xbacd, v43
	v_add_f16_e32 v54, v54, v60
	v_fma_f16 v60, v65, s21, v101
	v_mul_f16_e32 v102, 0xbb29, v67
	v_add_f16_e32 v54, v54, v60
	v_fma_f16 v60, v46, s9, v102
	v_mul_f16_e32 v103, 0xba62, v69
	v_add_f16_e32 v60, v1, v60
	v_fma_f16 v70, v48, s4, v103
	v_mul_f16_e32 v104, 0x31e1, v71
	v_add_f16_e32 v60, v60, v70
	v_fma_f16 v70, v50, s5, v104
	v_mul_f16_e32 v105, 0x3bb2, v73
	v_add_f16_e32 v60, v60, v70
	v_fma_f16 v70, v51, s8, v105
	v_mul_f16_e32 v106, 0x3964, v75
	v_add_f16_e32 v60, v60, v70
	v_fma_f16 v70, v52, s1, v106
	v_mul_f16_e32 v107, 0xb5c8, v77
	v_add_f16_e32 v60, v60, v70
	v_fma_f16 v70, v53, s10, v107
	v_mul_f16_e32 v108, 0xbbf7, v78
	v_add_f16_e32 v60, v60, v70
	v_fma_f16 v70, v55, s0, v108
	v_mul_f16_e32 v109, 0xb836, v80
	v_add_f16_e32 v60, v60, v70
	v_fma_f16 v70, v56, s7, v109
	v_mul_f16_e32 v110, 0x2de8, v16
	v_add_f16_e32 v60, v60, v70
	v_fma_f16 v70, v57, s16, v110
	v_mul_f16_e32 v111, 0xbbdd, v17
	v_add_f16_e32 v70, v6, v70
	v_fma_f16 v81, v58, s12, v111
	v_mul_f16_e32 v112, 0xb461, v20
	v_add_f16_e32 v70, v70, v81
	v_fma_f16 v81, v59, s22, v112
	v_mul_f16_e32 v113, 0x3b76, v23
	v_add_f16_e32 v70, v70, v81
	v_fma_f16 v81, v61, s14, v113
	v_mul_f16_e32 v114, 0x3722, v30
	v_add_f16_e32 v70, v70, v81
	v_fma_f16 v81, v62, s17, v114
	v_mul_f16_e32 v115, 0xbacd, v39
	v_add_f16_e32 v70, v70, v81
	v_fma_f16 v81, v63, s21, v115
	v_mul_f16_e32 v116, 0xb8d2, v42
	v_add_f16_e32 v70, v70, v81
	v_fma_f16 v81, v64, s23, v116
	v_mul_f16_e32 v117, 0x39e9, v43
	v_add_f16_e32 v70, v70, v81
	v_fma_f16 v81, v65, s20, v117
	v_mul_f16_e32 v118, 0xbbf7, v67
	v_add_f16_e32 v70, v70, v81
	v_fma_f16 v81, v46, s0, v118
	v_mul_f16_e32 v119, 0xb1e1, v69
	v_add_f16_e32 v81, v1, v81
	v_fma_f16 v88, v48, s5, v119
	v_mul_f16_e32 v120, 0x3bb2, v71
	v_add_f16_e32 v81, v81, v88
	v_fma_f16 v88, v50, s8, v120
	v_mul_f16_e32 v121, 0x35c8, v73
	v_add_f16_e32 v81, v81, v88
	v_fma_f16 v88, v51, s10, v121
	v_mul_f16_e32 v122, 0xbb29, v75
	v_add_f16_e32 v81, v81, v88
	v_fma_f16 v88, v52, s9, v122
	v_mul_f16_e32 v123, 0xb836, v77
	v_add_f16_e32 v81, v81, v88
	v_fma_f16 v88, v53, s7, v123
	v_mul_f16_e32 v124, 0x3a62, v78
	v_add_f16_e32 v81, v81, v88
	v_fma_f16 v88, v55, s4, v124
	v_mul_f16_e32 v125, 0x3964, v80
	v_add_f16_e32 v81, v81, v88
	v_fma_f16 v88, v56, s1, v125
	v_mul_f16_e32 v126, 0xb461, v16
	v_add_f16_e32 v81, v81, v88
	v_fma_f16 v88, v57, s24, v126
	v_mul_f16_e32 v127, 0xbacd, v17
	v_add_f16_e32 v88, v6, v88
	v_fma_f16 v93, v58, s11, v127
	v_mul_f16_e32 v128, 0x39e9, v20
	v_add_f16_e32 v88, v88, v93
	v_fma_f16 v93, v59, s20, v128
	v_mul_f16_e32 v129, 0x3722, v23
	v_add_f16_e32 v88, v88, v93
	v_fma_f16 v93, v61, s17, v129
	v_mul_f16_e32 v130, 0xbbdd, v30
	v_add_f16_e32 v88, v88, v93
	v_fma_f16 v93, v62, s12, v130
	v_mul_f16_e32 v131, 0x2de8, v39
	v_add_f16_e32 v88, v88, v93
	v_fma_f16 v93, v63, s25, v131
	v_mul_f16_e32 v132, 0x3b76, v42
	v_add_f16_e32 v88, v88, v93
	v_fma_f16 v93, v64, s19, v132
	v_mul_f16_e32 v133, 0xb8d2, v43
	v_add_f16_e32 v88, v88, v93
	v_fma_f16 v93, v65, s13, v133
	v_mul_f16_e32 v134, 0xbbb2, v67
	v_add_f16_e32 v88, v88, v93
	v_fma_f16 v93, v46, s8, v134
	v_mul_f16_e32 v135, 0x3836, v69
	v_add_f16_e32 v93, v1, v93
	v_fma_f16 v136, v48, s7, v135
	v_add_f16_e32 v93, v93, v136
	v_mul_f16_e32 v136, 0x3964, v71
	v_fma_f16 v137, v50, s1, v136
	v_add_f16_e32 v93, v93, v137
	v_mul_f16_e32 v137, 0xbb29, v73
	v_fma_f16 v138, v51, s9, v137
	v_add_f16_e32 v93, v93, v138
	v_mul_f16_e32 v138, 0xb1e1, v75
	v_fma_f16 v139, v52, s5, v138
	v_add_f16_e32 v93, v93, v139
	v_mul_f16_e32 v139, 0x3bf7, v77
	v_fma_f16 v140, v53, s0, v139
	v_add_f16_e32 v93, v93, v140
	v_mul_f16_e32 v140, 0xb5c8, v78
	v_fma_f16 v141, v55, s10, v140
	v_add_f16_e32 v93, v93, v141
	v_mul_f16_e32 v141, 0xba62, v80
	v_fma_f16 v142, v56, s4, v141
	v_add_f16_e32 v93, v93, v142
	v_mul_f16_e32 v142, 0xb8d2, v16
	v_fma_f16 v143, v57, s13, v142
	v_mul_f16_e32 v144, 0xb461, v17
	v_add_f16_e32 v143, v6, v143
	v_fma_f16 v145, v58, s22, v144
	v_add_f16_e32 v143, v143, v145
	v_mul_f16_e32 v145, 0x3b76, v20
	v_fma_f16 v146, v59, s19, v145
	v_add_f16_e32 v143, v143, v146
	v_mul_f16_e32 v146, 0xbacd, v23
	v_fma_f16 v147, v61, s21, v146
	v_add_f16_e32 v143, v143, v147
	v_mul_f16_e32 v147, 0x2de8, v30
	v_fma_f16 v148, v62, s25, v147
	v_add_f16_e32 v143, v143, v148
	v_mul_f16_e32 v148, 0x39e9, v39
	v_fma_f16 v149, v63, s6, v148
	v_add_f16_e32 v143, v143, v149
	v_mul_f16_e32 v149, 0xbbdd, v42
	v_fma_f16 v150, v64, s12, v149
	v_add_f16_e32 v143, v143, v150
	v_mul_f16_e32 v150, 0x3722, v43
	v_fma_f16 v151, v65, s15, v150
	v_add_f16_e32 v143, v143, v151
	v_mul_f16_e32 v151, 0xba62, v67
	v_fma_f16 v152, v46, s4, v151
	v_mul_f16_e32 v153, 0x3bb2, v69
	v_add_f16_e32 v152, v1, v152
	v_fma_f16 v154, v48, s8, v153
	v_add_f16_e32 v152, v152, v154
	v_mul_f16_e32 v154, 0xb5c8, v71
	v_fma_f16 v155, v50, s10, v154
	v_add_f16_e32 v152, v152, v155
	v_mul_f16_e32 v155, 0xb836, v73
	v_fma_f16 v156, v51, s7, v155
	v_add_f16_e32 v152, v152, v156
	v_mul_f16_e32 v156, 0x3bf7, v75
	v_fma_f16 v157, v52, s0, v156
	v_add_f16_e32 v152, v152, v157
	v_mul_f16_e32 v157, 0xb964, v77
	v_fma_f16 v158, v53, s1, v157
	v_add_f16_e32 v152, v152, v158
	v_mul_f16_e32 v158, 0xb1e1, v78
	v_fma_f16 v159, v55, s5, v158
	v_add_f16_e32 v152, v152, v159
	v_mul_f16_e32 v159, 0x3b29, v80
	v_fma_f16 v160, v56, s9, v159
	v_add_f16_e32 v152, v152, v160
	v_mul_f16_e32 v160, 0xbacd, v16
	v_fma_f16 v161, v57, s21, v160
	v_mul_f16_e32 v162, 0x3722, v17
	v_add_f16_e32 v161, v6, v161
	v_fma_f16 v163, v58, s15, v162
	v_add_f16_e32 v161, v161, v163
	v_mul_f16_e32 v163, 0x2de8, v20
	v_fma_f16 v164, v59, s16, v163
	v_add_f16_e32 v161, v161, v164
	v_mul_f16_e32 v164, 0xb8d2, v23
	v_fma_f16 v165, v61, s23, v164
	v_add_f16_e32 v161, v161, v165
	v_mul_f16_e32 v165, 0x3b76, v30
	v_fma_f16 v166, v62, s19, v165
	v_add_f16_e32 v161, v161, v166
	v_mul_f16_e32 v166, 0xbbdd, v39
	v_fma_f16 v167, v63, s12, v166
	v_add_f16_e32 v161, v161, v167
	v_mul_f16_e32 v167, 0x39e9, v42
	v_fma_f16 v168, v64, s20, v167
	v_add_f16_e32 v161, v161, v168
	v_mul_f16_e32 v168, 0xb461, v43
	v_fma_f16 v169, v65, s24, v168
	v_add_f16_e32 v161, v161, v169
	v_mul_f16_e32 v169, 0xb836, v67
	v_fma_f16 v170, v46, s7, v169
	v_mul_f16_e32 v171, 0x3b29, v69
	v_add_f16_e32 v170, v1, v170
	v_fma_f16 v172, v48, s9, v171
	v_add_f16_e32 v170, v170, v172
	v_mul_f16_e32 v172, 0xbbf7, v71
	v_fma_f16 v173, v50, s0, v172
	v_add_f16_e32 v170, v170, v173
	v_mul_f16_e32 v173, 0x3a62, v73
	v_fma_f16 v174, v51, s4, v173
	;; [unrolled: 3-line block ×4, first 2 shown]
	v_fma_f16 v66, v57, s20, v66
	v_add_f16_e32 v170, v170, v176
	v_mul_f16_e32 v176, 0x3964, v78
	v_add_f16_e32 v66, v6, v66
	v_fma_f16 v68, v58, s25, v68
	v_fma_f16 v177, v55, s1, v176
	v_add_f16_e32 v66, v66, v68
	v_fma_f16 v68, v59, s23, v72
	v_add_f16_e32 v170, v170, v177
	v_mul_f16_e32 v177, 0xbbb2, v80
	v_add_f16_e32 v66, v66, v68
	v_fma_f16 v68, v61, s18, v74
	v_fma_f16 v178, v56, s8, v177
	v_add_f16_e32 v66, v66, v68
	v_fma_f16 v68, v62, s21, v76
	v_add_f16_e32 v10, v6, v10
	v_add_f16_e32 v170, v170, v178
	v_mul_f16_e32 v178, 0xbbdd, v16
	v_add_f16_e32 v66, v66, v68
	v_fma_f16 v68, v63, s24, v79
	v_add_f16_e32 v10, v10, v11
	v_fma_f16 v179, v57, s12, v178
	v_mul_f16_e32 v180, 0x3b76, v17
	v_add_f16_e32 v66, v66, v68
	v_fma_f16 v68, v64, s17, v82
	v_add_f16_e32 v10, v10, v12
	v_add_f16_e32 v179, v6, v179
	v_fma_f16 v181, v58, s14, v180
	v_add_f16_e32 v66, v66, v68
	v_fma_f16 v68, v65, s19, v83
	v_add_f16_e32 v10, v10, v14
	v_add_f16_e32 v179, v179, v181
	v_mul_f16_e32 v181, 0xbacd, v20
	v_add_f16_e32 v66, v66, v68
	v_fma_f16 v68, v46, s1, -v84
	v_add_f16_e32 v10, v10, v29
	v_fma_f16 v182, v59, s21, v181
	v_add_f16_e32 v68, v1, v68
	v_fma_f16 v72, v48, s0, -v85
	v_add_f16_e32 v10, v10, v41
	v_add_f16_e32 v179, v179, v182
	v_mul_f16_e32 v182, 0x39e9, v23
	v_add_f16_e32 v68, v68, v72
	v_fma_f16 v72, v50, s4, -v86
	v_add_f16_e32 v10, v10, v45
	v_fma_f16 v183, v61, s20, v182
	v_add_f16_e32 v68, v68, v72
	v_fma_f16 v72, v51, s5, -v87
	v_add_f16_e32 v10, v10, v49
	v_add_f16_e32 v179, v179, v183
	v_mul_f16_e32 v183, 0xb8d2, v30
	v_add_f16_e32 v68, v68, v72
	v_fma_f16 v72, v52, s7, -v89
	v_add_f16_e32 v10, v47, v10
	v_fma_f16 v184, v62, s13, v183
	v_add_f16_e32 v68, v68, v72
	v_fma_f16 v72, v53, s8, -v90
	v_add_f16_e32 v10, v40, v10
	v_add_f16_e32 v179, v179, v184
	v_mul_f16_e32 v184, 0x3722, v39
	v_add_f16_e32 v68, v68, v72
	v_fma_f16 v72, v55, s9, -v91
	v_add_f16_e32 v10, v31, v10
	v_fma_f16 v185, v63, s15, v184
	v_fma_f16 v178, v57, s18, v178
	;; [unrolled: 1-line block ×7, first 2 shown]
	v_add_f16_e32 v68, v68, v72
	v_fma_f16 v72, v56, s10, -v92
	v_mul_f16_e32 v57, 0xb5c8, v57
	v_add_f16_e32 v10, v15, v10
	v_add_f16_e32 v179, v179, v185
	v_mul_f16_e32 v185, 0xb461, v42
	v_add_f16_e32 v178, v6, v178
	v_fma_f16 v180, v58, s19, v180
	v_add_f16_e32 v160, v6, v160
	v_fma_f16 v162, v58, s17, v162
	;; [unrolled: 2-line block ×7, first 2 shown]
	v_mul_f16_e32 v58, 0xb964, v58
	v_add_f16_e32 v9, v9, v10
	v_fma_f16 v186, v64, s24, v185
	v_add_f16_e32 v178, v178, v180
	v_fma_f16 v180, v59, s11, v181
	;; [unrolled: 2-line block ×8, first 2 shown]
	v_mul_f16_e32 v59, 0xbb29, v59
	v_add_f16_e32 v8, v8, v9
	v_add_f16_e32 v179, v179, v186
	v_mul_f16_e32 v186, 0x2de8, v43
	v_add_f16_e32 v178, v178, v180
	v_fma_f16 v180, v61, s6, v182
	v_add_f16_e32 v160, v160, v162
	v_fma_f16 v162, v61, s13, v164
	;; [unrolled: 2-line block ×7, first 2 shown]
	v_mul_f16_e32 v61, 0xbbf7, v61
	v_add_f16_e32 v7, v7, v8
	v_fma_f16 v187, v65, s25, v186
	v_add_f16_e32 v178, v178, v180
	v_fma_f16 v180, v62, s23, v183
	;; [unrolled: 2-line block ×8, first 2 shown]
	v_mul_f16_e32 v62, 0xbbb2, v62
	v_add_f16_e32 v4, v4, v7
	v_fma_f16 v7, v16, s10, -v57
	v_add_f16_e32 v179, v179, v187
	v_mul_f16_e32 v187, 0xb1e1, v67
	v_add_f16_e32 v178, v178, v180
	v_fma_f16 v180, v63, s17, v184
	v_add_f16_e32 v160, v160, v162
	v_fma_f16 v162, v63, s18, v166
	;; [unrolled: 2-line block ×7, first 2 shown]
	v_mul_f16_e32 v63, 0xba62, v63
	v_add_f16_e32 v6, v6, v7
	v_fma_f16 v7, v17, s1, -v58
	v_fma_f16 v188, v46, s5, v187
	v_mul_f16_e32 v189, 0x35c8, v69
	v_add_f16_e32 v178, v178, v180
	v_fma_f16 v180, v64, s22, v185
	v_add_f16_e32 v160, v160, v162
	v_fma_f16 v162, v64, s6, v167
	;; [unrolled: 2-line block ×7, first 2 shown]
	v_mul_f16_e32 v64, 0xb836, v64
	v_add_f16_e32 v6, v6, v7
	v_fma_f16 v7, v20, s9, -v59
	v_add_f16_e32 v188, v1, v188
	v_fma_f16 v190, v48, s10, v189
	v_add_f16_e32 v178, v178, v180
	v_fma_f16 v180, v65, s16, v186
	;; [unrolled: 2-line block ×8, first 2 shown]
	v_mul_f16_e32 v65, 0xb1e1, v65
	v_add_f16_e32 v6, v6, v7
	v_fma_f16 v7, v23, s0, -v61
	v_add_f16_e32 v188, v188, v190
	v_mul_f16_e32 v190, 0xb836, v71
	v_add_f16_e32 v72, v72, v74
	v_fma_f16 v74, v43, s5, v65
	v_mul_f16_e32 v67, 0xb5c8, v67
	v_add_f16_e32 v24, v1, v24
	v_add_f16_e32 v6, v6, v7
	v_fma_f16 v7, v30, s8, -v62
	v_fma_f16 v191, v50, s7, v190
	v_add_f16_e32 v72, v72, v74
	v_fma_f16 v74, v46, s10, -v67
	v_mul_f16_e32 v69, 0xb964, v69
	v_add_f16_e32 v24, v24, v25
	v_add_f16_e32 v6, v6, v7
	v_fma_f16 v7, v39, s4, -v63
	v_add_f16_e32 v188, v188, v191
	v_mul_f16_e32 v191, 0x3964, v73
	v_add_f16_e32 v74, v1, v74
	v_fma_f16 v76, v48, s1, -v69
	v_mul_f16_e32 v71, 0xbb29, v71
	v_add_f16_e32 v24, v24, v26
	v_add_f16_e32 v6, v6, v7
	v_fma_f16 v7, v42, s7, -v64
	v_fma_f16 v192, v51, s1, v191
	v_add_f16_e32 v74, v74, v76
	v_fma_f16 v76, v50, s9, -v71
	v_mul_f16_e32 v73, 0xbbf7, v73
	v_add_f16_e32 v24, v24, v27
	v_add_f16_e32 v6, v6, v7
	v_fma_f16 v7, v43, s5, -v65
	v_add_f16_e32 v188, v188, v192
	v_mul_f16_e32 v192, 0xba62, v75
	v_add_f16_e32 v178, v178, v180
	v_fma_f16 v180, v46, s5, -v187
	v_add_f16_e32 v160, v160, v162
	v_fma_f16 v162, v46, s7, -v169
	;; [unrolled: 2-line block ×7, first 2 shown]
	v_mul_f16_e32 v75, 0xbbb2, v75
	v_add_f16_e32 v24, v24, v33
	v_add_f16_e32 v6, v6, v7
	v_fma_f16 v7, v46, s10, v67
	v_add_f16_e32 v180, v1, v180
	v_add_f16_e32 v162, v1, v162
	;; [unrolled: 1-line block ×7, first 2 shown]
	v_fma_f16 v76, v52, s8, -v75
	v_add_f16_e32 v24, v24, v34
	v_add_f16_e32 v1, v1, v7
	v_fma_f16 v7, v48, s1, v69
	v_fma_f16 v193, v52, s4, v192
	v_add_f16_e32 v74, v74, v76
	v_mul_f16_e32 v76, 0xba62, v77
	v_add_f16_e32 v24, v24, v35
	v_add_f16_e32 v1, v1, v7
	v_fma_f16 v7, v50, s9, v71
	v_add_f16_e32 v188, v188, v193
	v_mul_f16_e32 v193, 0x3b29, v77
	v_fma_f16 v77, v53, s4, -v76
	v_add_f16_e32 v24, v24, v36
	v_add_f16_e32 v1, v1, v7
	v_fma_f16 v7, v51, s0, v73
	v_fma_f16 v194, v53, s9, v193
	v_add_f16_e32 v74, v74, v77
	v_mul_f16_e32 v77, 0xb836, v78
	v_add_f16_e32 v24, v38, v24
	v_add_f16_e32 v1, v1, v7
	v_fma_f16 v7, v52, s8, v75
	v_add_f16_e32 v188, v188, v194
	v_mul_f16_e32 v194, 0xbbb2, v78
	v_fma_f16 v78, v55, s7, -v77
	v_add_f16_e32 v24, v37, v24
	v_add_f16_e32 v1, v1, v7
	v_fma_f16 v7, v53, s4, v76
	v_add_f16_e32 v74, v74, v78
	v_mul_f16_e32 v78, 0xb1e1, v80
	v_add_f16_e32 v24, v32, v24
	v_add_f16_e32 v1, v1, v7
	v_fma_f16 v7, v55, s7, v77
	v_fma_f16 v96, v48, s4, -v103
	v_add_f16_e32 v24, v28, v24
	v_add_f16_e32 v1, v1, v7
	v_fma_f16 v7, v56, s5, v78
	v_fma_f16 v112, v48, s5, -v119
	v_add_f16_e32 v95, v95, v96
	v_fma_f16 v96, v50, s5, -v104
	v_add_f16_e32 v22, v22, v24
	v_add_f16_e32 v7, v1, v7
	v_mov_b32_e32 v1, v5
	v_fma_f16 v128, v48, s7, -v135
	v_add_f16_e32 v111, v111, v112
	v_fma_f16 v112, v50, s8, -v120
	v_add_f16_e32 v95, v95, v96
	;; [unrolled: 2-line block ×3, first 2 shown]
	v_mov_b32_e32 v5, s3
	v_lshlrev_b64 v[0:1], 2, v[0:1]
	v_fma_f16 v145, v48, s8, -v153
	v_add_f16_e32 v127, v127, v128
	v_fma_f16 v128, v50, s1, -v136
	v_add_f16_e32 v111, v111, v112
	;; [unrolled: 2-line block ×4, first 2 shown]
	v_addc_co_u32_e32 v3, vcc, v5, v3, vcc
	v_fma_f16 v163, v48, s9, -v171
	v_add_f16_e32 v144, v144, v145
	v_fma_f16 v145, v50, s10, -v154
	v_add_f16_e32 v127, v127, v128
	;; [unrolled: 2-line block ×4, first 2 shown]
	v_fma_f16 v96, v53, s10, -v107
	v_fma_f16 v79, v56, s5, -v78
	v_add_f16_e32 v18, v18, v19
	v_add_co_u32_e32 v0, vcc, v2, v0
	v_fma_f16 v181, v48, s10, -v189
	v_add_f16_e32 v162, v162, v163
	v_fma_f16 v163, v50, s0, -v172
	v_add_f16_e32 v144, v144, v145
	;; [unrolled: 2-line block ×6, first 2 shown]
	v_addc_co_u32_e32 v1, vcc, v3, v1, vcc
	v_pack_b32_f16 v2, v18, v4
	v_add_f16_e32 v180, v180, v181
	v_fma_f16 v181, v50, s7, -v190
	v_add_f16_e32 v162, v162, v163
	v_fma_f16 v163, v51, s4, -v173
	v_add_f16_e32 v144, v144, v145
	v_fma_f16 v145, v52, s0, -v156
	v_add_f16_e32 v127, v127, v128
	v_fma_f16 v128, v53, s0, -v139
	v_add_f16_e32 v111, v111, v112
	v_fma_f16 v112, v55, s4, -v124
	v_add_f16_e32 v95, v95, v96
	v_fma_f16 v96, v56, s7, -v109
	global_store_dword v[0:1], v2, off
	v_pack_b32_f16 v2, v74, v72
	v_add_f16_e32 v180, v180, v181
	v_fma_f16 v181, v51, s1, -v191
	v_add_f16_e32 v162, v162, v163
	v_fma_f16 v163, v52, s10, -v174
	;; [unrolled: 2-line block ×5, first 2 shown]
	v_add_f16_e32 v95, v95, v96
	global_store_dword v[0:1], v2, off offset:64
	v_pack_b32_f16 v2, v68, v66
	v_add_f16_e32 v180, v180, v181
	v_fma_f16 v181, v52, s4, -v192
	v_add_f16_e32 v162, v162, v163
	v_fma_f16 v163, v53, s5, -v175
	;; [unrolled: 2-line block ×4, first 2 shown]
	v_add_f16_e32 v111, v111, v112
	global_store_dword v[0:1], v2, off offset:128
	v_pack_b32_f16 v2, v95, v94
	v_fma_f16 v195, v55, s8, v194
	v_add_f16_e32 v180, v180, v181
	v_fma_f16 v181, v53, s9, -v193
	v_add_f16_e32 v162, v162, v163
	v_fma_f16 v163, v55, s1, -v176
	;; [unrolled: 2-line block ×3, first 2 shown]
	v_add_f16_e32 v127, v127, v128
	global_store_dword v[0:1], v2, off offset:192
	v_pack_b32_f16 v2, v111, v110
	v_add_f16_e32 v188, v188, v195
	v_mul_f16_e32 v195, 0x3bf7, v80
	v_add_f16_e32 v180, v180, v181
	v_fma_f16 v181, v55, s8, -v194
	v_add_f16_e32 v162, v162, v163
	v_fma_f16 v163, v56, s8, -v177
	v_add_f16_e32 v144, v144, v145
	global_store_dword v[0:1], v2, off offset:256
	v_pack_b32_f16 v2, v127, v126
	v_add_f16_e32 v180, v180, v181
	v_fma_f16 v181, v56, s0, -v195
	v_add_f16_e32 v162, v162, v163
	global_store_dword v[0:1], v2, off offset:320
	v_pack_b32_f16 v2, v144, v142
	v_fma_f16 v196, v56, s0, v195
	v_add_f16_e32 v180, v180, v181
	global_store_dword v[0:1], v2, off offset:384
	v_pack_b32_f16 v2, v162, v160
	v_add_f16_e32 v188, v188, v196
	global_store_dword v[0:1], v2, off offset:448
	v_pack_b32_f16 v2, v180, v178
	global_store_dword v[0:1], v2, off offset:512
	v_pack_b32_f16 v2, v188, v179
	global_store_dword v[0:1], v2, off offset:576
	v_pack_b32_f16 v2, v170, v161
	global_store_dword v[0:1], v2, off offset:640
	v_pack_b32_f16 v2, v152, v143
	global_store_dword v[0:1], v2, off offset:704
	v_pack_b32_f16 v2, v93, v88
	global_store_dword v[0:1], v2, off offset:768
	v_pack_b32_f16 v2, v81, v70
	global_store_dword v[0:1], v2, off offset:832
	v_pack_b32_f16 v2, v60, v54
	global_store_dword v[0:1], v2, off offset:896
	v_pack_b32_f16 v2, v44, v13
	global_store_dword v[0:1], v2, off offset:960
	v_pack_b32_f16 v2, v7, v6
	global_store_dword v[0:1], v2, off offset:1024
	s_endpgm
	.section	.rodata,"a",@progbits
	.p2align	6, 0x0
	.amdhsa_kernel fft_rtc_fwd_len272_factors_16_17_wgs_119_tpt_17_halfLds_half_ip_CI_unitstride_sbrr_dirReg
		.amdhsa_group_segment_fixed_size 0
		.amdhsa_private_segment_fixed_size 0
		.amdhsa_kernarg_size 88
		.amdhsa_user_sgpr_count 6
		.amdhsa_user_sgpr_private_segment_buffer 1
		.amdhsa_user_sgpr_dispatch_ptr 0
		.amdhsa_user_sgpr_queue_ptr 0
		.amdhsa_user_sgpr_kernarg_segment_ptr 1
		.amdhsa_user_sgpr_dispatch_id 0
		.amdhsa_user_sgpr_flat_scratch_init 0
		.amdhsa_user_sgpr_private_segment_size 0
		.amdhsa_uses_dynamic_stack 0
		.amdhsa_system_sgpr_private_segment_wavefront_offset 0
		.amdhsa_system_sgpr_workgroup_id_x 1
		.amdhsa_system_sgpr_workgroup_id_y 0
		.amdhsa_system_sgpr_workgroup_id_z 0
		.amdhsa_system_sgpr_workgroup_info 0
		.amdhsa_system_vgpr_workitem_id 0
		.amdhsa_next_free_vgpr 197
		.amdhsa_next_free_sgpr 26
		.amdhsa_reserve_vcc 1
		.amdhsa_reserve_flat_scratch 0
		.amdhsa_float_round_mode_32 0
		.amdhsa_float_round_mode_16_64 0
		.amdhsa_float_denorm_mode_32 3
		.amdhsa_float_denorm_mode_16_64 3
		.amdhsa_dx10_clamp 1
		.amdhsa_ieee_mode 1
		.amdhsa_fp16_overflow 0
		.amdhsa_exception_fp_ieee_invalid_op 0
		.amdhsa_exception_fp_denorm_src 0
		.amdhsa_exception_fp_ieee_div_zero 0
		.amdhsa_exception_fp_ieee_overflow 0
		.amdhsa_exception_fp_ieee_underflow 0
		.amdhsa_exception_fp_ieee_inexact 0
		.amdhsa_exception_int_div_zero 0
	.end_amdhsa_kernel
	.text
.Lfunc_end0:
	.size	fft_rtc_fwd_len272_factors_16_17_wgs_119_tpt_17_halfLds_half_ip_CI_unitstride_sbrr_dirReg, .Lfunc_end0-fft_rtc_fwd_len272_factors_16_17_wgs_119_tpt_17_halfLds_half_ip_CI_unitstride_sbrr_dirReg
                                        ; -- End function
	.section	.AMDGPU.csdata,"",@progbits
; Kernel info:
; codeLenInByte = 8536
; NumSgprs: 30
; NumVgprs: 197
; ScratchSize: 0
; MemoryBound: 0
; FloatMode: 240
; IeeeMode: 1
; LDSByteSize: 0 bytes/workgroup (compile time only)
; SGPRBlocks: 3
; VGPRBlocks: 49
; NumSGPRsForWavesPerEU: 30
; NumVGPRsForWavesPerEU: 197
; Occupancy: 1
; WaveLimiterHint : 1
; COMPUTE_PGM_RSRC2:SCRATCH_EN: 0
; COMPUTE_PGM_RSRC2:USER_SGPR: 6
; COMPUTE_PGM_RSRC2:TRAP_HANDLER: 0
; COMPUTE_PGM_RSRC2:TGID_X_EN: 1
; COMPUTE_PGM_RSRC2:TGID_Y_EN: 0
; COMPUTE_PGM_RSRC2:TGID_Z_EN: 0
; COMPUTE_PGM_RSRC2:TIDIG_COMP_CNT: 0
	.type	__hip_cuid_39047f67c83d56c3,@object ; @__hip_cuid_39047f67c83d56c3
	.section	.bss,"aw",@nobits
	.globl	__hip_cuid_39047f67c83d56c3
__hip_cuid_39047f67c83d56c3:
	.byte	0                               ; 0x0
	.size	__hip_cuid_39047f67c83d56c3, 1

	.ident	"AMD clang version 19.0.0git (https://github.com/RadeonOpenCompute/llvm-project roc-6.4.0 25133 c7fe45cf4b819c5991fe208aaa96edf142730f1d)"
	.section	".note.GNU-stack","",@progbits
	.addrsig
	.addrsig_sym __hip_cuid_39047f67c83d56c3
	.amdgpu_metadata
---
amdhsa.kernels:
  - .args:
      - .actual_access:  read_only
        .address_space:  global
        .offset:         0
        .size:           8
        .value_kind:     global_buffer
      - .offset:         8
        .size:           8
        .value_kind:     by_value
      - .actual_access:  read_only
        .address_space:  global
        .offset:         16
        .size:           8
        .value_kind:     global_buffer
      - .actual_access:  read_only
        .address_space:  global
        .offset:         24
        .size:           8
        .value_kind:     global_buffer
      - .offset:         32
        .size:           8
        .value_kind:     by_value
      - .actual_access:  read_only
        .address_space:  global
        .offset:         40
        .size:           8
        .value_kind:     global_buffer
      - .actual_access:  read_only
        .address_space:  global
        .offset:         48
        .size:           8
        .value_kind:     global_buffer
      - .offset:         56
        .size:           4
        .value_kind:     by_value
      - .actual_access:  read_only
        .address_space:  global
        .offset:         64
        .size:           8
        .value_kind:     global_buffer
      - .actual_access:  read_only
        .address_space:  global
        .offset:         72
        .size:           8
        .value_kind:     global_buffer
      - .address_space:  global
        .offset:         80
        .size:           8
        .value_kind:     global_buffer
    .group_segment_fixed_size: 0
    .kernarg_segment_align: 8
    .kernarg_segment_size: 88
    .language:       OpenCL C
    .language_version:
      - 2
      - 0
    .max_flat_workgroup_size: 119
    .name:           fft_rtc_fwd_len272_factors_16_17_wgs_119_tpt_17_halfLds_half_ip_CI_unitstride_sbrr_dirReg
    .private_segment_fixed_size: 0
    .sgpr_count:     30
    .sgpr_spill_count: 0
    .symbol:         fft_rtc_fwd_len272_factors_16_17_wgs_119_tpt_17_halfLds_half_ip_CI_unitstride_sbrr_dirReg.kd
    .uniform_work_group_size: 1
    .uses_dynamic_stack: false
    .vgpr_count:     197
    .vgpr_spill_count: 0
    .wavefront_size: 64
amdhsa.target:   amdgcn-amd-amdhsa--gfx906
amdhsa.version:
  - 1
  - 2
...

	.end_amdgpu_metadata
